;; amdgpu-corpus repo=ROCm/rocFFT kind=compiled arch=gfx1030 opt=O3
	.text
	.amdgcn_target "amdgcn-amd-amdhsa--gfx1030"
	.amdhsa_code_object_version 6
	.protected	bluestein_single_fwd_len1500_dim1_sp_op_CI_CI ; -- Begin function bluestein_single_fwd_len1500_dim1_sp_op_CI_CI
	.globl	bluestein_single_fwd_len1500_dim1_sp_op_CI_CI
	.p2align	8
	.type	bluestein_single_fwd_len1500_dim1_sp_op_CI_CI,@function
bluestein_single_fwd_len1500_dim1_sp_op_CI_CI: ; @bluestein_single_fwd_len1500_dim1_sp_op_CI_CI
; %bb.0:
	s_load_dwordx4 s[16:19], s[4:5], 0x28
	v_mul_u32_u24_e32 v1, 0x1b5, v0
	v_mov_b32_e32 v65, 0
	s_mov_b32 s0, exec_lo
	v_lshrrev_b32_e32 v1, 16, v1
	v_add_nc_u32_e32 v64, s6, v1
	s_waitcnt lgkmcnt(0)
	v_cmpx_gt_u64_e64 s[16:17], v[64:65]
	s_cbranch_execz .LBB0_10
; %bb.1:
	s_clause 0x1
	s_load_dwordx4 s[0:3], s[4:5], 0x18
	s_load_dwordx4 s[12:15], s[4:5], 0x0
	v_mul_lo_u16 v1, 0x96, v1
	s_load_dwordx2 s[4:5], s[4:5], 0x38
	v_sub_nc_u16 v32, v0, v1
	v_and_b32_e32 v97, 0xffff, v32
	v_lshlrev_b32_e32 v98, 3, v97
	v_add_co_u32 v35, null, 0x96, v97
	s_waitcnt lgkmcnt(0)
	s_load_dwordx4 s[8:11], s[0:1], 0x0
	s_clause 0x1
	global_load_dwordx2 v[65:66], v98, s[12:13]
	global_load_dwordx2 v[71:72], v98, s[12:13] offset:1200
	v_add_co_u32 v14, s0, s12, v98
	v_add_co_ci_u32_e64 v15, null, s13, 0, s0
	v_add_nc_u32_e32 v37, 0x2400, v98
	v_add_nc_u32_e32 v33, 0x800, v98
	;; [unrolled: 1-line block ×4, first 2 shown]
	s_waitcnt lgkmcnt(0)
	v_mad_u64_u32 v[0:1], null, s10, v64, 0
	v_mad_u64_u32 v[2:3], null, s8, v97, 0
	s_mul_i32 s0, s9, 0x960
	s_mul_hi_u32 s1, s8, 0x960
	s_mul_i32 s6, s8, 0x960
	s_add_i32 s1, s1, s0
	s_mul_i32 s0, s9, 0xffffdf30
	v_mad_u64_u32 v[4:5], null, s11, v64, v[1:2]
	s_sub_i32 s0, s0, s8
	v_mad_u64_u32 v[5:6], null, s9, v97, v[3:4]
	v_mov_b32_e32 v1, v4
	v_add_co_u32 v6, vcc_lo, 0x800, v14
	v_add_co_ci_u32_e32 v7, vcc_lo, 0, v15, vcc_lo
	v_add_co_u32 v8, vcc_lo, 0x1000, v14
	v_mov_b32_e32 v3, v5
	v_lshlrev_b64 v[0:1], 3, v[0:1]
	v_add_co_ci_u32_e32 v9, vcc_lo, 0, v15, vcc_lo
	v_add_co_u32 v4, vcc_lo, 0x1800, v14
	v_add_co_ci_u32_e32 v5, vcc_lo, 0, v15, vcc_lo
	v_lshlrev_b64 v[2:3], 3, v[2:3]
	v_add_co_u32 v0, vcc_lo, s18, v0
	v_add_co_ci_u32_e32 v1, vcc_lo, s19, v1, vcc_lo
	global_load_dwordx2 v[75:76], v[8:9], off offset:704
	v_add_co_u32 v0, vcc_lo, v0, v2
	v_add_co_ci_u32_e32 v1, vcc_lo, v1, v3, vcc_lo
	v_add_co_u32 v2, vcc_lo, v0, s6
	v_add_co_ci_u32_e32 v3, vcc_lo, s1, v1, vcc_lo
	;; [unrolled: 2-line block ×6, first 2 shown]
	global_load_dwordx2 v[0:1], v[0:1], off
	global_load_dwordx2 v[77:78], v[4:5], off offset:1056
	global_load_dwordx2 v[2:3], v[2:3], off
	global_load_dwordx2 v[83:84], v[6:7], off offset:352
	v_add_co_u32 v18, vcc_lo, v16, s6
	v_add_co_ci_u32_e32 v19, vcc_lo, s1, v17, vcc_lo
	global_load_dwordx2 v[12:13], v[12:13], off
	s_clause 0x2
	global_load_dwordx2 v[81:82], v[10:11], off offset:1408
	global_load_dwordx2 v[79:80], v[6:7], off offset:1552
	;; [unrolled: 1-line block ×3, first 2 shown]
	s_clause 0x1
	global_load_dwordx2 v[6:7], v[16:17], off
	global_load_dwordx2 v[8:9], v[18:19], off
	v_mad_u64_u32 v[4:5], null, 0xffffdf30, s8, v[18:19]
	v_add_nc_u32_e32 v5, s0, v5
	v_add_co_u32 v16, vcc_lo, v4, s6
	v_add_co_ci_u32_e32 v17, vcc_lo, s1, v5, vcc_lo
	v_add_co_u32 v18, vcc_lo, v16, s6
	global_load_dwordx2 v[4:5], v[4:5], off
	v_add_co_ci_u32_e32 v19, vcc_lo, s1, v17, vcc_lo
	global_load_dwordx2 v[20:21], v[16:17], off
	v_add_co_u32 v16, vcc_lo, v18, s6
	v_add_co_ci_u32_e32 v17, vcc_lo, s1, v19, vcc_lo
	global_load_dwordx2 v[18:19], v[18:19], off
	v_add_co_u32 v22, vcc_lo, v16, s6
	v_add_co_ci_u32_e32 v23, vcc_lo, s1, v17, vcc_lo
	global_load_dwordx2 v[69:70], v[10:11], off offset:208
	global_load_dwordx2 v[10:11], v[16:17], off
	global_load_dwordx2 v[73:74], v[14:15], off offset:560
	global_load_dwordx2 v[14:15], v[22:23], off
	s_load_dwordx4 s[8:11], s[2:3], 0x0
	v_and_b32_e32 v17, 0xff, v32
	v_cmp_gt_u16_e32 vcc_lo, 50, v32
	v_mul_lo_u16 v16, 0xcd, v17
	v_mul_lo_u16 v17, v17, 41
	v_lshrrev_b16 v16, 10, v16
	v_mul_lo_u16 v26, v16, 5
	s_waitcnt vmcnt(16)
	v_mul_f32_e32 v22, v1, v66
	v_mul_f32_e32 v23, v0, v66
	s_waitcnt vmcnt(13)
	v_mul_f32_e32 v24, v3, v84
	v_mul_f32_e32 v25, v2, v84
	v_fmac_f32_e32 v22, v0, v65
	s_waitcnt vmcnt(12)
	v_mul_f32_e32 v0, v13, v76
	v_fma_f32 v23, v1, v65, -v23
	v_mul_f32_e32 v1, v12, v76
	v_fmac_f32_e32 v24, v2, v83
	v_fma_f32 v25, v3, v83, -v25
	s_waitcnt vmcnt(8)
	v_mul_f32_e32 v2, v7, v78
	v_mul_f32_e32 v3, v6, v78
	v_fmac_f32_e32 v0, v12, v75
	v_fma_f32 v1, v13, v75, -v1
	s_waitcnt vmcnt(7)
	v_mul_f32_e32 v12, v9, v82
	v_fmac_f32_e32 v2, v6, v77
	v_fma_f32 v3, v7, v77, -v3
	ds_write_b64 v98, v[24:25] offset:2400
	ds_write_b64 v98, v[0:1] offset:4800
	ds_write_b64 v98, v[2:3] offset:7200
	v_mul_f32_e32 v27, v8, v82
	v_fmac_f32_e32 v12, v8, v81
	v_fma_f32 v13, v9, v81, -v27
	s_waitcnt vmcnt(6)
	v_mul_f32_e32 v1, v4, v72
	v_mul_f32_e32 v0, v5, v72
	ds_write_b64 v98, v[12:13] offset:9600
	s_waitcnt vmcnt(5)
	v_mul_f32_e32 v2, v21, v80
	v_mul_f32_e32 v3, v20, v80
	v_fma_f32 v1, v5, v71, -v1
	v_fmac_f32_e32 v0, v4, v71
	s_waitcnt vmcnt(4)
	v_mul_f32_e32 v5, v18, v68
	v_mul_f32_e32 v4, v19, v68
	v_fmac_f32_e32 v2, v20, v79
	s_waitcnt vmcnt(2)
	v_mul_f32_e32 v6, v11, v70
	v_mul_f32_e32 v7, v10, v70
	s_waitcnt vmcnt(0)
	v_mul_f32_e32 v8, v15, v74
	v_mul_f32_e32 v9, v14, v74
	v_fma_f32 v3, v21, v79, -v3
	v_fma_f32 v5, v19, v67, -v5
	v_mov_b32_e32 v19, 3
	v_mul_lo_u16 v20, v32, 5
	v_mul_u32_u24_e32 v21, 5, v35
	v_fmac_f32_e32 v4, v18, v67
	v_fmac_f32_e32 v6, v10, v69
	v_fma_f32 v7, v11, v69, -v7
	v_fmac_f32_e32 v8, v14, v73
	v_fma_f32 v9, v15, v73, -v9
	ds_write2_b64 v98, v[22:23], v[0:1] offset1:150
	ds_write_b64 v98, v[2:3] offset:3600
	ds_write_b64 v98, v[4:5] offset:6000
	;; [unrolled: 1-line block ×4, first 2 shown]
	s_waitcnt lgkmcnt(0)
	s_barrier
	buffer_gl0_inv
	ds_read2_b64 v[0:3], v98 offset1:150
	ds_read2_b64 v[4:7], v33 offset0:44 offset1:194
	ds_read2_b64 v[8:11], v36 offset0:88 offset1:238
	;; [unrolled: 1-line block ×3, first 2 shown]
	v_lshlrev_b32_sdwa v100, v19, v20 dst_sel:DWORD dst_unused:UNUSED_PAD src0_sel:DWORD src1_sel:WORD_0
	v_lshlrev_b32_e32 v99, 3, v21
	ds_read2_b64 v[19:22], v37 offset0:48 offset1:198
	v_sub_nc_u16 v18, v32, v26
	s_waitcnt lgkmcnt(0)
	s_barrier
	buffer_gl0_inv
	v_and_b32_e32 v18, 0xff, v18
	v_mad_u64_u32 v[23:24], null, 0x48, v18, s[14:15]
	v_add_f32_e32 v25, v0, v4
	v_sub_f32_e32 v28, v4, v8
	v_add_f32_e32 v26, v8, v12
	v_sub_f32_e32 v29, v8, v4
	v_add_f32_e32 v30, v1, v5
	v_add_f32_e32 v31, v9, v13
	v_sub_f32_e32 v39, v5, v9
	v_sub_f32_e32 v40, v9, v5
	v_sub_f32_e32 v51, v5, v20
	v_add_f32_e32 v52, v4, v19
	v_sub_f32_e32 v53, v4, v19
	v_add_f32_e32 v54, v5, v20
	v_sub_f32_e32 v4, v19, v12
	v_sub_f32_e32 v5, v12, v19
	v_add_f32_e32 v41, v2, v6
	v_add_f32_e32 v45, v3, v7
	;; [unrolled: 1-line block ×3, first 2 shown]
	v_sub_f32_e32 v44, v6, v10
	v_sub_f32_e32 v46, v10, v6
	v_add_f32_e32 v47, v11, v15
	v_sub_f32_e32 v49, v7, v11
	v_sub_f32_e32 v50, v11, v7
	;; [unrolled: 1-line block ×3, first 2 shown]
	v_add_f32_e32 v56, v6, v21
	v_sub_f32_e32 v57, v6, v21
	v_add_f32_e32 v58, v7, v22
	v_sub_f32_e32 v6, v20, v13
	v_sub_f32_e32 v7, v13, v20
	v_sub_f32_e32 v27, v9, v13
	v_sub_f32_e32 v38, v8, v12
	v_add_f32_e32 v8, v25, v8
	v_add_f32_e32 v9, v30, v9
	;; [unrolled: 1-line block ×4, first 2 shown]
	v_fma_f32 v4, -0.5, v26, v0
	v_fma_f32 v5, -0.5, v31, v1
	v_sub_f32_e32 v43, v11, v15
	v_sub_f32_e32 v48, v10, v14
	;; [unrolled: 1-line block ×3, first 2 shown]
	v_add_f32_e32 v10, v41, v10
	v_add_f32_e32 v11, v45, v11
	v_fma_f32 v0, -0.5, v52, v0
	v_fma_f32 v1, -0.5, v54, v1
	v_add_f32_e32 v26, v39, v6
	v_add_f32_e32 v29, v40, v7
	v_fma_f32 v6, -0.5, v42, v2
	v_fma_f32 v7, -0.5, v47, v3
	v_fma_f32 v2, -0.5, v56, v2
	v_fmac_f32_e32 v3, -0.5, v58
	v_add_f32_e32 v41, v8, v12
	v_add_f32_e32 v42, v9, v13
	v_fmamk_f32 v8, v51, 0x3f737871, v4
	v_fmamk_f32 v9, v53, 0xbf737871, v5
	v_add_f32_e32 v30, v44, v59
	v_add_f32_e32 v44, v10, v14
	;; [unrolled: 1-line block ×3, first 2 shown]
	v_fmamk_f32 v10, v27, 0xbf737871, v0
	v_fmac_f32_e32 v0, 0x3f737871, v27
	v_fmamk_f32 v11, v38, 0x3f737871, v1
	v_fmac_f32_e32 v1, 0xbf737871, v38
	v_fmac_f32_e32 v4, 0xbf737871, v51
	;; [unrolled: 1-line block ×3, first 2 shown]
	v_sub_f32_e32 v61, v22, v15
	v_fmamk_f32 v12, v55, 0x3f737871, v6
	v_fmamk_f32 v13, v57, 0xbf737871, v7
	v_sub_f32_e32 v60, v14, v21
	v_sub_f32_e32 v62, v15, v22
	v_fmac_f32_e32 v6, 0xbf737871, v55
	v_fmamk_f32 v14, v43, 0xbf737871, v2
	v_fmac_f32_e32 v2, 0x3f737871, v43
	v_fmac_f32_e32 v7, 0x3f737871, v57
	v_fmamk_f32 v15, v48, 0x3f737871, v3
	v_fmac_f32_e32 v3, 0xbf737871, v48
	v_fmac_f32_e32 v8, 0x3f167918, v27
	;; [unrolled: 1-line block ×9, first 2 shown]
	v_add_f32_e32 v39, v49, v61
	v_fmac_f32_e32 v12, 0x3f167918, v43
	v_fmac_f32_e32 v13, 0xbf167918, v48
	v_add_f32_e32 v31, v46, v60
	v_add_f32_e32 v40, v50, v62
	v_fmac_f32_e32 v6, 0xbf167918, v43
	v_fmac_f32_e32 v14, 0x3f167918, v55
	;; [unrolled: 1-line block ×6, first 2 shown]
	v_add_f32_e32 v19, v41, v19
	v_add_f32_e32 v20, v42, v20
	v_fmac_f32_e32 v8, 0x3e9e377a, v25
	v_fmac_f32_e32 v9, 0x3e9e377a, v26
	;; [unrolled: 1-line block ×8, first 2 shown]
	v_add_f32_e32 v21, v44, v21
	v_add_f32_e32 v22, v45, v22
	v_fmac_f32_e32 v12, 0x3e9e377a, v30
	v_fmac_f32_e32 v13, 0x3e9e377a, v39
	;; [unrolled: 1-line block ×8, first 2 shown]
	ds_write2_b64 v100, v[19:20], v[8:9] offset1:1
	ds_write2_b64 v100, v[10:11], v[0:1] offset0:2 offset1:3
	ds_write_b64 v100, v[4:5] offset:32
	ds_write2_b64 v99, v[21:22], v[12:13] offset1:1
	ds_write2_b64 v99, v[14:15], v[2:3] offset0:2 offset1:3
	ds_write_b64 v99, v[6:7] offset:32
	s_waitcnt lgkmcnt(0)
	s_barrier
	buffer_gl0_inv
	s_clause 0x4
	global_load_dwordx4 v[8:11], v[23:24], off
	global_load_dwordx4 v[4:7], v[23:24], off offset:16
	global_load_dwordx4 v[0:3], v[23:24], off offset:32
	;; [unrolled: 1-line block ×3, first 2 shown]
	global_load_dwordx2 v[85:86], v[23:24], off offset:64
	v_mov_b32_e32 v27, 50
	ds_read2_b64 v[19:22], v33 offset0:44 offset1:194
	ds_read2_b64 v[23:26], v36 offset0:88 offset1:238
	;; [unrolled: 1-line block ×3, first 2 shown]
	ds_read2_b64 v[42:45], v98 offset1:150
	v_mul_u32_u24_sdwa v16, v16, v27 dst_sel:DWORD dst_unused:UNUSED_PAD src0_sel:WORD_0 src1_sel:DWORD
	ds_read2_b64 v[27:30], v34 offset0:4 offset1:154
	v_lshrrev_b16 v48, 11, v17
	s_waitcnt vmcnt(0) lgkmcnt(0)
	s_barrier
	v_add_lshl_u32 v101, v16, v18, 3
	buffer_gl0_inv
	v_mul_lo_u16 v17, v48, 50
	v_sub_nc_u16 v17, v32, v17
	v_and_b32_e32 v50, 0xff, v17
	v_mad_u64_u32 v[46:47], null, 0x48, v50, s[14:15]
	v_mul_f32_e32 v16, v20, v11
	v_mul_f32_e32 v17, v19, v11
	;; [unrolled: 1-line block ×18, first 2 shown]
	v_fma_f32 v16, v19, v10, -v16
	v_fmac_f32_e32 v17, v20, v10
	v_fma_f32 v18, v21, v4, -v18
	v_fmac_f32_e32 v31, v22, v4
	v_fma_f32 v19, v23, v6, -v49
	v_fma_f32 v20, v25, v0, -v52
	v_fmac_f32_e32 v53, v26, v0
	v_fma_f32 v21, v27, v2, -v54
	;; [unrolled: 3-line block ×3, first 2 shown]
	v_fmac_f32_e32 v51, v24, v6
	v_fma_f32 v24, v40, v85, -v60
	v_fmac_f32_e32 v61, v41, v85
	v_fma_f32 v25, v44, v8, -v62
	v_fmac_f32_e32 v63, v45, v8
	v_fmac_f32_e32 v55, v28, v2
	;; [unrolled: 1-line block ×3, first 2 shown]
	v_add_f32_e32 v26, v19, v21
	v_sub_f32_e32 v39, v16, v19
	v_sub_f32_e32 v40, v23, v21
	v_add_f32_e32 v56, v20, v22
	v_add_f32_e32 v58, v53, v57
	;; [unrolled: 1-line block ×3, first 2 shown]
	v_sub_f32_e32 v45, v18, v20
	v_sub_f32_e32 v52, v31, v53
	;; [unrolled: 1-line block ×4, first 2 shown]
	v_add_f32_e32 v89, v25, v18
	v_add_f32_e32 v90, v63, v31
	v_sub_f32_e32 v102, v20, v18
	v_add_f32_e32 v18, v18, v24
	v_sub_f32_e32 v104, v53, v31
	v_add_f32_e32 v31, v31, v61
	v_add_f32_e32 v28, v51, v55
	v_sub_f32_e32 v49, v24, v22
	v_fma_f32 v106, -0.5, v26, v42
	v_add_f32_e32 v26, v39, v40
	v_fma_f32 v39, -0.5, v56, v25
	v_fma_f32 v40, -0.5, v58, v63
	v_add_f32_e32 v27, v16, v23
	v_add_f32_e32 v38, v43, v17
	v_sub_f32_e32 v41, v17, v51
	v_sub_f32_e32 v44, v59, v55
	;; [unrolled: 1-line block ×8, first 2 shown]
	v_add_f32_e32 v19, v30, v19
	v_add_f32_e32 v20, v89, v20
	v_fmac_f32_e32 v25, -0.5, v18
	v_fmac_f32_e32 v63, -0.5, v31
	v_add_f32_e32 v29, v17, v59
	v_sub_f32_e32 v54, v61, v57
	v_fma_f32 v107, -0.5, v28, v43
	v_add_f32_e32 v28, v45, v49
	v_fmamk_f32 v45, v60, 0xbf737871, v40
	v_fmamk_f32 v49, v87, 0x3f737871, v39
	v_sub_f32_e32 v91, v17, v59
	v_sub_f32_e32 v92, v51, v55
	;; [unrolled: 1-line block ×6, first 2 shown]
	v_fma_f32 v42, -0.5, v27, v42
	v_add_f32_e32 v27, v41, v44
	v_add_f32_e32 v30, v38, v51
	;; [unrolled: 1-line block ×6, first 2 shown]
	v_fmamk_f32 v21, v88, 0xbf737871, v25
	v_fmac_f32_e32 v25, 0x3f737871, v88
	v_fmamk_f32 v22, v62, 0x3f737871, v63
	v_fmac_f32_e32 v63, 0xbf737871, v62
	v_fmac_f32_e32 v39, 0xbf737871, v87
	;; [unrolled: 1-line block ×3, first 2 shown]
	v_fma_f32 v43, -0.5, v29, v43
	v_add_f32_e32 v29, v52, v54
	v_fmac_f32_e32 v45, 0xbf167918, v62
	v_fmac_f32_e32 v49, 0x3f167918, v88
	v_add_f32_e32 v44, v17, v96
	v_add_f32_e32 v18, v102, v103
	;; [unrolled: 1-line block ×5, first 2 shown]
	v_fmamk_f32 v51, v92, 0xbf737871, v42
	v_fmac_f32_e32 v42, 0x3f737871, v92
	v_fmac_f32_e32 v21, 0x3f167918, v87
	;; [unrolled: 1-line block ×5, first 2 shown]
	v_fmamk_f32 v30, v91, 0x3f737871, v106
	v_fmac_f32_e32 v106, 0xbf737871, v91
	v_fmac_f32_e32 v39, 0xbf167918, v88
	;; [unrolled: 1-line block ×3, first 2 shown]
	v_fmamk_f32 v38, v93, 0xbf737871, v107
	v_fmac_f32_e32 v45, 0x3e9e377a, v29
	v_fmac_f32_e32 v49, 0x3e9e377a, v28
	v_fmamk_f32 v52, v94, 0x3f737871, v43
	v_fmac_f32_e32 v43, 0xbf737871, v94
	v_add_f32_e32 v23, v16, v23
	v_add_f32_e32 v53, v17, v59
	v_add_f32_e32 v19, v19, v24
	v_add_f32_e32 v20, v20, v61
	v_fmac_f32_e32 v51, 0x3f167918, v91
	v_fmac_f32_e32 v42, 0xbf167918, v91
	;; [unrolled: 1-line block ×12, first 2 shown]
	v_mul_f32_e32 v28, 0x3f167918, v45
	v_mul_f32_e32 v29, 0xbf167918, v49
	v_fmac_f32_e32 v52, 0xbf167918, v93
	v_fmac_f32_e32 v43, 0x3f167918, v93
	v_add_f32_e32 v16, v23, v19
	v_add_f32_e32 v17, v53, v20
	v_fmac_f32_e32 v51, 0x3e9e377a, v41
	v_fmac_f32_e32 v42, 0x3e9e377a, v41
	v_sub_f32_e32 v18, v23, v19
	v_sub_f32_e32 v19, v53, v20
	v_mul_f32_e32 v31, 0x3f737871, v22
	v_mul_f32_e32 v41, 0xbf737871, v21
	;; [unrolled: 1-line block ×4, first 2 shown]
	v_fmac_f32_e32 v107, 0x3f167918, v94
	v_fmac_f32_e32 v30, 0x3e9e377a, v26
	;; [unrolled: 1-line block ×3, first 2 shown]
	v_mul_f32_e32 v24, 0x3f4f1bbd, v39
	v_mul_f32_e32 v26, 0x3f4f1bbd, v40
	v_fmac_f32_e32 v38, 0x3e9e377a, v27
	v_fmac_f32_e32 v28, 0x3f4f1bbd, v49
	;; [unrolled: 1-line block ×7, first 2 shown]
	v_fma_f32 v44, 0x3f737871, v63, -v20
	v_fma_f32 v45, 0xbf737871, v25, -v23
	v_fmac_f32_e32 v107, 0x3e9e377a, v27
	v_fma_f32 v40, 0x3f167918, v40, -v24
	v_fma_f32 v49, 0xbf167918, v39, -v26
	v_add_f32_e32 v20, v30, v28
	v_add_f32_e32 v21, v38, v29
	v_add_f32_e32 v22, v51, v31
	v_add_f32_e32 v23, v52, v41
	v_add_f32_e32 v24, v42, v44
	v_add_f32_e32 v25, v43, v45
	v_add_f32_e32 v26, v106, v40
	v_add_f32_e32 v27, v107, v49
	v_sub_f32_e32 v28, v30, v28
	v_sub_f32_e32 v29, v38, v29
	;; [unrolled: 1-line block ×8, first 2 shown]
	ds_write2_b64 v101, v[16:17], v[20:21] offset1:5
	ds_write2_b64 v101, v[22:23], v[24:25] offset0:10 offset1:15
	ds_write2_b64 v101, v[26:27], v[18:19] offset0:20 offset1:25
	;; [unrolled: 1-line block ×4, first 2 shown]
	s_waitcnt lgkmcnt(0)
	s_barrier
	buffer_gl0_inv
	s_clause 0x4
	global_load_dwordx4 v[16:19], v[46:47], off offset:360
	global_load_dwordx4 v[20:23], v[46:47], off offset:376
	;; [unrolled: 1-line block ×4, first 2 shown]
	global_load_dwordx2 v[87:88], v[46:47], off offset:424
	v_mov_b32_e32 v46, 0x1f4
	ds_read2_b64 v[38:41], v33 offset0:44 offset1:194
	ds_read2_b64 v[42:45], v36 offset0:88 offset1:238
	ds_read2_b64 v[54:57], v98 offset1:150
	v_add_nc_u32_e32 v103, 0x1400, v98
	v_mul_u32_u24_sdwa v36, v48, v46 dst_sel:DWORD dst_unused:UNUSED_PAD src0_sel:WORD_0 src1_sel:DWORD
	ds_read2_b64 v[46:49], v34 offset0:4 offset1:154
	v_add_lshl_u32 v102, v36, v50, 3
	ds_read2_b64 v[50:53], v37 offset0:48 offset1:198
	s_waitcnt vmcnt(0) lgkmcnt(0)
	s_barrier
	buffer_gl0_inv
	v_add_nc_u32_e32 v58, 0x800, v102
	v_mul_f32_e32 v36, v39, v19
	v_mul_f32_e32 v37, v38, v19
	;; [unrolled: 1-line block ×17, first 2 shown]
	v_fma_f32 v36, v38, v18, -v36
	v_fmac_f32_e32 v37, v39, v18
	v_fma_f32 v38, v40, v20, -v59
	v_fmac_f32_e32 v60, v41, v20
	;; [unrolled: 2-line block ×4, first 2 shown]
	v_fma_f32 v41, v46, v26, -v90
	v_fma_f32 v42, v48, v28, -v92
	v_fmac_f32_e32 v93, v49, v28
	v_fma_f32 v43, v50, v30, -v94
	v_mul_f32_e32 v95, v50, v31
	v_fma_f32 v44, v52, v87, -v96
	v_fmac_f32_e32 v104, v53, v87
	v_fma_f32 v45, v56, v16, -v105
	v_fmac_f32_e32 v106, v57, v16
	v_fmac_f32_e32 v91, v47, v26
	v_add_f32_e32 v46, v39, v41
	v_sub_f32_e32 v52, v36, v39
	v_sub_f32_e32 v53, v43, v41
	v_add_f32_e32 v92, v40, v42
	v_add_f32_e32 v94, v89, v93
	v_fmac_f32_e32 v95, v51, v30
	v_add_f32_e32 v50, v54, v36
	v_sub_f32_e32 v59, v38, v40
	v_sub_f32_e32 v63, v60, v89
	;; [unrolled: 1-line block ×4, first 2 shown]
	v_add_f32_e32 v109, v45, v38
	v_add_f32_e32 v110, v106, v60
	v_sub_f32_e32 v117, v40, v38
	v_add_f32_e32 v38, v38, v44
	v_sub_f32_e32 v119, v89, v60
	v_add_f32_e32 v60, v60, v104
	v_add_f32_e32 v48, v62, v91
	v_sub_f32_e32 v61, v44, v42
	v_fma_f32 v121, -0.5, v46, v54
	v_add_f32_e32 v46, v52, v53
	v_fma_f32 v52, -0.5, v92, v45
	v_fma_f32 v53, -0.5, v94, v106
	v_add_f32_e32 v47, v36, v43
	v_add_f32_e32 v49, v37, v95
	;; [unrolled: 1-line block ×3, first 2 shown]
	v_sub_f32_e32 v56, v37, v62
	v_sub_f32_e32 v57, v95, v91
	;; [unrolled: 1-line block ×8, first 2 shown]
	v_add_f32_e32 v39, v50, v39
	v_add_f32_e32 v40, v109, v40
	v_fmac_f32_e32 v45, -0.5, v38
	v_fmac_f32_e32 v106, -0.5, v60
	v_sub_f32_e32 v90, v104, v93
	v_fma_f32 v122, -0.5, v48, v55
	v_add_f32_e32 v48, v59, v61
	v_fmamk_f32 v60, v96, 0xbf737871, v53
	v_fmamk_f32 v61, v107, 0x3f737871, v52
	v_sub_f32_e32 v111, v37, v95
	v_sub_f32_e32 v112, v62, v91
	;; [unrolled: 1-line block ×6, first 2 shown]
	v_fma_f32 v54, -0.5, v47, v54
	v_fma_f32 v55, -0.5, v49, v55
	v_add_f32_e32 v47, v56, v57
	v_add_f32_e32 v50, v51, v62
	;; [unrolled: 1-line block ×6, first 2 shown]
	v_fmamk_f32 v41, v108, 0xbf737871, v45
	v_fmac_f32_e32 v45, 0x3f737871, v108
	v_fmamk_f32 v42, v105, 0x3f737871, v106
	v_fmac_f32_e32 v106, 0xbf737871, v105
	v_fmac_f32_e32 v52, 0xbf737871, v107
	;; [unrolled: 1-line block ×3, first 2 shown]
	v_add_f32_e32 v49, v63, v90
	v_fmac_f32_e32 v60, 0xbf167918, v105
	v_fmac_f32_e32 v61, 0x3f167918, v108
	v_add_f32_e32 v57, v37, v116
	v_add_f32_e32 v38, v117, v118
	;; [unrolled: 1-line block ×5, first 2 shown]
	v_fmamk_f32 v62, v112, 0xbf737871, v54
	v_fmac_f32_e32 v54, 0x3f737871, v112
	v_fmamk_f32 v63, v114, 0x3f737871, v55
	v_fmac_f32_e32 v55, 0xbf737871, v114
	v_fmac_f32_e32 v41, 0x3f167918, v107
	;; [unrolled: 1-line block ×5, first 2 shown]
	v_fmamk_f32 v50, v111, 0x3f737871, v121
	v_fmac_f32_e32 v121, 0xbf737871, v111
	v_fmac_f32_e32 v52, 0xbf167918, v108
	;; [unrolled: 1-line block ×3, first 2 shown]
	v_fmamk_f32 v51, v113, 0xbf737871, v122
	v_fmac_f32_e32 v60, 0x3e9e377a, v49
	v_fmac_f32_e32 v61, 0x3e9e377a, v48
	v_add_f32_e32 v43, v36, v43
	v_add_f32_e32 v89, v37, v95
	v_add_f32_e32 v39, v39, v44
	v_add_f32_e32 v40, v40, v104
	v_fmac_f32_e32 v62, 0x3f167918, v111
	v_fmac_f32_e32 v54, 0xbf167918, v111
	;; [unrolled: 1-line block ×14, first 2 shown]
	v_mul_f32_e32 v48, 0x3f167918, v60
	v_mul_f32_e32 v49, 0xbf167918, v61
	v_add_f32_e32 v36, v43, v39
	v_add_f32_e32 v37, v89, v40
	v_fmac_f32_e32 v62, 0x3e9e377a, v56
	v_fmac_f32_e32 v54, 0x3e9e377a, v56
	;; [unrolled: 1-line block ×4, first 2 shown]
	v_sub_f32_e32 v38, v43, v39
	v_sub_f32_e32 v39, v89, v40
	v_mul_f32_e32 v56, 0x3f737871, v42
	v_mul_f32_e32 v57, 0xbf737871, v41
	;; [unrolled: 1-line block ×4, first 2 shown]
	v_fmac_f32_e32 v122, 0x3f167918, v114
	v_fmac_f32_e32 v50, 0x3e9e377a, v46
	;; [unrolled: 1-line block ×3, first 2 shown]
	v_mul_f32_e32 v44, 0x3f4f1bbd, v52
	v_mul_f32_e32 v46, 0x3f4f1bbd, v53
	v_fmac_f32_e32 v51, 0x3e9e377a, v47
	v_fmac_f32_e32 v48, 0x3f4f1bbd, v61
	;; [unrolled: 1-line block ×5, first 2 shown]
	v_fma_f32 v59, 0x3f737871, v106, -v40
	v_fma_f32 v60, 0xbf737871, v45, -v43
	v_fmac_f32_e32 v122, 0x3e9e377a, v47
	v_fma_f32 v61, 0x3f167918, v53, -v44
	v_fma_f32 v90, 0xbf167918, v52, -v46
	v_add_f32_e32 v40, v50, v48
	v_add_f32_e32 v41, v51, v49
	v_add_f32_e32 v42, v62, v56
	v_add_f32_e32 v43, v63, v57
	v_add_f32_e32 v44, v54, v59
	v_add_f32_e32 v45, v55, v60
	v_add_f32_e32 v46, v121, v61
	v_add_f32_e32 v47, v122, v90
	v_sub_f32_e32 v48, v50, v48
	v_sub_f32_e32 v49, v51, v49
	v_sub_f32_e32 v50, v62, v56
	v_sub_f32_e32 v51, v63, v57
	v_sub_f32_e32 v52, v54, v59
	v_sub_f32_e32 v53, v55, v60
	v_sub_f32_e32 v89, v121, v61
	v_sub_f32_e32 v90, v122, v90
	ds_write2_b64 v102, v[36:37], v[40:41] offset1:50
	ds_write2_b64 v102, v[42:43], v[44:45] offset0:100 offset1:150
	ds_write2_b64 v102, v[46:47], v[38:39] offset0:200 offset1:250
	;; [unrolled: 1-line block ×4, first 2 shown]
	s_waitcnt lgkmcnt(0)
	s_barrier
	buffer_gl0_inv
	ds_read_b64 v[95:96], v98 offset:10400
	ds_read2_b64 v[48:51], v33 offset0:44 offset1:244
	ds_read2_b64 v[60:63], v34 offset0:104 offset1:254
	ds_read2_b64 v[52:55], v98 offset1:150
	ds_read2_b64 v[56:59], v103 offset0:10 offset1:160
                                        ; implicit-def: $vgpr91
                                        ; implicit-def: $vgpr93
	s_and_saveexec_b32 s0, vcc_lo
	s_cbranch_execz .LBB0_3
; %bb.2:
	ds_read_b64 v[89:90], v98 offset:3600
	ds_read_b64 v[91:92], v98 offset:7600
	ds_read_b64 v[93:94], v98 offset:11600
.LBB0_3:
	s_or_b32 exec_lo, exec_lo, s0
	v_lshlrev_b32_e32 v36, 4, v97
	v_lshlrev_b32_e32 v32, 4, v35
	v_add_nc_u32_e32 v106, 0x2200, v98
	v_add_co_u32 v33, s0, s14, v36
	v_add_co_ci_u32_e64 v34, null, s15, 0, s0
	v_add_co_u32 v35, s0, s14, v32
	v_add_co_ci_u32_e64 v37, null, s15, 0, s0
	v_add_co_u32 v32, s0, 0x800, v33
	v_add_co_ci_u32_e64 v33, s0, 0, v34, s0
	v_add_co_u32 v34, s0, 0x800, v35
	v_add_nc_u32_e32 v40, 0x12c0, v36
	v_add_co_ci_u32_e64 v35, s0, 0, v37, s0
	v_add_co_u32 v41, s0, 0x1c2, v97
	v_add_co_ci_u32_e64 v42, null, 0, 0, s0
	s_clause 0x1
	global_load_dwordx4 v[44:47], v[32:33], off offset:1912
	global_load_dwordx4 v[36:39], v[34:35], off offset:1912
	v_add_co_u32 v32, s0, s14, v40
	v_add_co_ci_u32_e64 v33, null, s15, 0, s0
	v_add_co_u32 v34, s0, 0xffffffce, v97
	v_add_co_ci_u32_e64 v35, null, 0, -1, s0
	v_add_co_u32 v32, s0, 0x800, v32
	v_add_co_ci_u32_e64 v33, s0, 0, v33, s0
	v_cndmask_b32_e32 v35, v35, v42, vcc_lo
	v_cndmask_b32_e32 v34, v34, v41, vcc_lo
	global_load_dwordx4 v[40:43], v[32:33], off offset:1912
	v_lshlrev_b64 v[32:33], 4, v[34:35]
	v_add_co_u32 v32, s0, s14, v32
	v_add_co_ci_u32_e64 v33, s0, s15, v33, s0
	v_add_co_u32 v32, s0, 0x800, v32
	v_add_co_ci_u32_e64 v33, s0, 0, v33, s0
	global_load_dwordx4 v[32:35], v[32:33], off offset:1912
	s_waitcnt vmcnt(3) lgkmcnt(3)
	v_mul_f32_e32 v104, v51, v45
	v_mul_f32_e32 v105, v50, v45
	s_waitcnt lgkmcnt(2)
	v_mul_f32_e32 v107, v61, v47
	v_mul_f32_e32 v108, v60, v47
	s_waitcnt vmcnt(2) lgkmcnt(0)
	v_mul_f32_e32 v109, v57, v37
	v_mul_f32_e32 v110, v56, v37
	;; [unrolled: 1-line block ×4, first 2 shown]
	v_fma_f32 v50, v50, v44, -v104
	v_fmac_f32_e32 v105, v51, v44
	v_fma_f32 v51, v60, v46, -v107
	v_fmac_f32_e32 v108, v61, v46
	v_fma_f32 v56, v56, v36, -v109
	v_fmac_f32_e32 v110, v57, v36
	v_fma_f32 v104, v62, v38, -v111
	v_fmac_f32_e32 v112, v63, v38
	v_add_f32_e32 v61, v50, v51
	s_waitcnt vmcnt(1)
	v_mul_f32_e32 v57, v59, v41
	v_mul_f32_e32 v107, v58, v41
	;; [unrolled: 1-line block ×4, first 2 shown]
	v_sub_f32_e32 v113, v105, v108
	v_fma_f32 v58, v58, v40, -v57
	v_fmac_f32_e32 v107, v59, v40
	v_fma_f32 v111, v95, v42, -v60
	v_fmac_f32_e32 v109, v96, v42
	v_add_f32_e32 v59, v52, v50
	v_add_f32_e32 v63, v53, v105
	v_add_f32_e32 v95, v105, v108
	v_add_f32_e32 v96, v54, v56
	v_add_f32_e32 v105, v56, v104
	v_sub_f32_e32 v114, v110, v112
	v_add_f32_e32 v115, v55, v110
	v_add_f32_e32 v110, v110, v112
	v_sub_f32_e32 v116, v56, v104
	v_sub_f32_e32 v50, v50, v51
	v_add_f32_e32 v60, v59, v51
	v_fma_f32 v62, -0.5, v61, v52
	s_waitcnt vmcnt(0)
	v_mul_f32_e32 v117, v92, v33
	v_mul_f32_e32 v57, v91, v33
	v_mul_f32_e32 v118, v94, v35
	v_mul_f32_e32 v56, v93, v35
	v_add_f32_e32 v61, v63, v108
	v_fma_f32 v63, -0.5, v95, v53
	v_add_f32_e32 v95, v96, v104
	v_fmac_f32_e32 v55, -0.5, v110
	v_add_f32_e32 v51, v48, v58
	v_add_f32_e32 v104, v58, v111
	v_sub_f32_e32 v110, v58, v111
	v_fma_f32 v58, v91, v32, -v117
	v_fmac_f32_e32 v57, v92, v32
	v_fma_f32 v59, v93, v34, -v118
	v_fmac_f32_e32 v56, v94, v34
	v_fma_f32 v54, -0.5, v105, v54
	v_sub_f32_e32 v105, v107, v109
	v_add_f32_e32 v108, v49, v107
	v_add_f32_e32 v107, v107, v109
	v_fmamk_f32 v53, v50, 0xbf5db3d7, v63
	v_fmac_f32_e32 v63, 0x3f5db3d7, v50
	v_add_f32_e32 v93, v51, v111
	v_add_f32_e32 v50, v58, v59
	;; [unrolled: 1-line block ×3, first 2 shown]
	v_fmamk_f32 v52, v113, 0x3f5db3d7, v62
	v_add_f32_e32 v94, v108, v109
	v_fmac_f32_e32 v49, -0.5, v107
	v_sub_f32_e32 v107, v57, v56
	v_sub_f32_e32 v108, v58, v59
	v_fma_f32 v50, -0.5, v50, v89
	v_fma_f32 v51, -0.5, v51, v90
	;; [unrolled: 1-line block ×3, first 2 shown]
	v_fmac_f32_e32 v62, 0xbf5db3d7, v113
	ds_write_b64 v98, v[52:53] offset:4000
	v_fmamk_f32 v52, v107, 0x3f5db3d7, v50
	v_fmac_f32_e32 v50, 0xbf5db3d7, v107
	v_fmamk_f32 v53, v108, 0xbf5db3d7, v51
	v_fmac_f32_e32 v51, 0x3f5db3d7, v108
	v_add_f32_e32 v96, v115, v112
	v_fmamk_f32 v91, v114, 0x3f5db3d7, v54
	v_fmamk_f32 v92, v116, 0xbf5db3d7, v55
	;; [unrolled: 1-line block ×3, first 2 shown]
	v_fmac_f32_e32 v48, 0xbf5db3d7, v105
	v_fmamk_f32 v105, v110, 0xbf5db3d7, v49
	v_fmac_f32_e32 v54, 0xbf5db3d7, v114
	v_fmac_f32_e32 v55, 0x3f5db3d7, v116
	v_fmac_f32_e32 v49, 0x3f5db3d7, v110
	ds_write_b64 v98, v[62:63] offset:8000
	ds_write2_b64 v98, v[60:61], v[95:96] offset1:150
	ds_write_b64 v98, v[93:94] offset:2400
	ds_write2_b64 v103, v[91:92], v[104:105] offset0:10 offset1:160
	ds_write2_b64 v106, v[54:55], v[48:49] offset0:62 offset1:212
	s_and_saveexec_b32 s0, vcc_lo
	s_cbranch_execz .LBB0_5
; %bb.4:
	v_add_f32_e32 v48, v90, v57
	v_add_f32_e32 v54, v89, v58
	;; [unrolled: 1-line block ×4, first 2 shown]
	ds_write_b64 v98, v[52:53] offset:7600
	ds_write_b64 v98, v[48:49] offset:3600
	ds_write_b64 v98, v[50:51] offset:11600
.LBB0_5:
	s_or_b32 exec_lo, exec_lo, s0
	v_lshlrev_b32_e32 v48, 3, v97
	s_waitcnt lgkmcnt(0)
	s_barrier
	buffer_gl0_inv
	v_add_nc_u32_e32 v125, 0x400, v98
	v_add_co_u32 v89, s0, s12, v48
	v_add_co_ci_u32_e64 v90, null, s13, 0, s0
	v_add_nc_u32_e32 v126, 0xc00, v98
	v_add_co_u32 v48, s0, 0x2800, v89
	v_add_co_ci_u32_e64 v49, s0, 0, v90, s0
	v_add_co_u32 v54, s0, 0x2ee0, v89
	v_add_co_ci_u32_e64 v55, s0, 0, v90, s0
	global_load_dwordx2 v[48:49], v[48:49], off offset:1760
	v_add_co_u32 v56, s1, 0x3800, v89
	global_load_dwordx2 v[107:108], v[54:55], off offset:1200
	v_add_co_u32 v58, s2, 0x4000, v89
	v_add_co_u32 v60, s0, 0x4800, v89
	;; [unrolled: 1-line block ×3, first 2 shown]
	v_add_co_ci_u32_e64 v57, s1, 0, v90, s1
	v_add_co_ci_u32_e64 v59, s1, 0, v90, s2
	;; [unrolled: 1-line block ×3, first 2 shown]
	global_load_dwordx2 v[109:110], v[56:57], off offset:64
	v_add_co_ci_u32_e64 v63, s0, 0, v90, s3
	v_add_co_u32 v54, s0, 0x5800, v89
	s_clause 0x3
	global_load_dwordx2 v[111:112], v[58:59], off offset:416
	global_load_dwordx2 v[113:114], v[60:61], off offset:768
	;; [unrolled: 1-line block ×4, first 2 shown]
	v_add_co_ci_u32_e64 v55, s0, 0, v90, s0
	s_clause 0x2
	global_load_dwordx2 v[117:118], v[58:59], off offset:1616
	global_load_dwordx2 v[119:120], v[60:61], off offset:1968
	;; [unrolled: 1-line block ×3, first 2 shown]
	ds_read2_b64 v[54:57], v98 offset1:150
	v_add_nc_u32_e32 v127, 0x1600, v98
	v_add_nc_u32_e32 v128, 0x2000, v98
	s_waitcnt vmcnt(9) lgkmcnt(0)
	v_mul_f32_e32 v58, v55, v49
	v_mul_f32_e32 v59, v54, v49
	v_add_nc_u32_e32 v49, 0x1c00, v98
	s_waitcnt vmcnt(8)
	v_mul_f32_e32 v123, v57, v108
	v_mul_f32_e32 v124, v56, v108
	v_fma_f32 v58, v54, v48, -v58
	v_fmac_f32_e32 v59, v55, v48
	v_add_nc_u32_e32 v48, 0x800, v98
	v_add_nc_u32_e32 v55, 0x1000, v98
	;; [unrolled: 1-line block ×3, first 2 shown]
	v_fma_f32 v123, v56, v107, -v123
	ds_write_b64 v98, v[58:59]
	ds_read2_b64 v[58:61], v48 offset0:44 offset1:194
	ds_read2_b64 v[89:92], v55 offset0:88 offset1:238
	;; [unrolled: 1-line block ×4, first 2 shown]
	v_fmac_f32_e32 v124, v57, v107
	s_waitcnt vmcnt(6) lgkmcnt(2)
	v_mul_f32_e32 v107, v90, v112
	v_mul_f32_e32 v56, v59, v110
	;; [unrolled: 1-line block ×4, first 2 shown]
	s_waitcnt vmcnt(4) lgkmcnt(0)
	v_mul_f32_e32 v130, v104, v63
	v_mul_f32_e32 v112, v103, v63
	s_waitcnt vmcnt(3)
	v_mul_f32_e32 v131, v61, v116
	v_mul_f32_e32 v63, v60, v116
	;; [unrolled: 1-line block ×4, first 2 shown]
	s_waitcnt vmcnt(2)
	v_mul_f32_e32 v132, v92, v118
	v_mul_f32_e32 v114, v91, v118
	s_waitcnt vmcnt(1)
	v_mul_f32_e32 v133, v96, v120
	v_mul_f32_e32 v116, v95, v120
	;; [unrolled: 3-line block ×3, first 2 shown]
	v_fma_f32 v56, v58, v109, -v56
	v_fmac_f32_e32 v57, v59, v109
	v_fma_f32 v107, v89, v111, -v107
	v_fmac_f32_e32 v108, v90, v111
	;; [unrolled: 2-line block ×8, first 2 shown]
	ds_write2_b64 v125, v[123:124], v[56:57] offset0:22 offset1:172
	ds_write2_b64 v126, v[62:63], v[107:108] offset0:66 offset1:216
	;; [unrolled: 1-line block ×4, first 2 shown]
	ds_write_b64 v98, v[117:118] offset:10800
	s_waitcnt lgkmcnt(0)
	s_barrier
	buffer_gl0_inv
	ds_read2_b64 v[56:59], v98 offset1:150
	ds_read2_b64 v[60:63], v48 offset0:44 offset1:194
	ds_read2_b64 v[89:92], v55 offset0:88 offset1:238
	;; [unrolled: 1-line block ×4, first 2 shown]
	s_waitcnt lgkmcnt(0)
	s_barrier
	buffer_gl0_inv
	v_add_f32_e32 v107, v56, v60
	v_add_f32_e32 v116, v57, v61
	;; [unrolled: 1-line block ×12, first 2 shown]
	v_sub_f32_e32 v109, v61, v104
	v_sub_f32_e32 v110, v90, v94
	v_sub_f32_e32 v111, v60, v89
	v_sub_f32_e32 v112, v103, v93
	v_sub_f32_e32 v114, v89, v60
	v_sub_f32_e32 v118, v60, v103
	v_sub_f32_e32 v119, v89, v93
	v_sub_f32_e32 v120, v61, v90
	v_sub_f32_e32 v121, v104, v94
	v_sub_f32_e32 v123, v90, v61
	v_add_f32_e32 v89, v107, v89
	v_fma_f32 v60, -0.5, v108, v56
	v_add_f32_e32 v90, v116, v90
	v_fma_f32 v61, -0.5, v117, v57
	v_fma_f32 v56, -0.5, v113, v56
	;; [unrolled: 1-line block ×3, first 2 shown]
	v_sub_f32_e32 v127, v63, v106
	v_sub_f32_e32 v129, v62, v91
	;; [unrolled: 1-line block ×6, first 2 shown]
	v_fma_f32 v62, -0.5, v126, v58
	v_fma_f32 v63, -0.5, v135, v59
	v_sub_f32_e32 v128, v92, v96
	v_sub_f32_e32 v137, v91, v95
	v_add_f32_e32 v113, v125, v91
	v_fma_f32 v58, -0.5, v131, v58
	v_add_f32_e32 v116, v134, v92
	v_fmac_f32_e32 v59, -0.5, v140
	v_add_f32_e32 v107, v111, v112
	v_add_f32_e32 v111, v120, v121
	v_add_f32_e32 v121, v89, v93
	v_fmamk_f32 v89, v109, 0xbf737871, v60
	v_add_f32_e32 v122, v90, v94
	v_fmamk_f32 v90, v118, 0x3f737871, v61
	v_sub_f32_e32 v115, v93, v103
	v_sub_f32_e32 v124, v94, v104
	v_fmamk_f32 v91, v110, 0x3f737871, v56
	v_fmac_f32_e32 v56, 0xbf737871, v110
	v_fmamk_f32 v92, v119, 0xbf737871, v57
	v_fmac_f32_e32 v57, 0x3f737871, v119
	v_fmac_f32_e32 v60, 0x3f737871, v109
	v_fmac_f32_e32 v61, 0xbf737871, v118
	v_sub_f32_e32 v130, v105, v95
	v_sub_f32_e32 v139, v106, v96
	v_fmamk_f32 v93, v127, 0xbf737871, v62
	v_fmamk_f32 v94, v136, 0x3f737871, v63
	v_sub_f32_e32 v133, v95, v105
	v_sub_f32_e32 v142, v96, v106
	v_add_f32_e32 v113, v113, v95
	v_fmac_f32_e32 v62, 0x3f737871, v127
	v_fmamk_f32 v95, v128, 0x3f737871, v58
	v_fmac_f32_e32 v58, 0xbf737871, v128
	v_add_f32_e32 v116, v116, v96
	v_fmac_f32_e32 v63, 0xbf737871, v136
	v_fmamk_f32 v96, v137, 0xbf737871, v59
	v_fmac_f32_e32 v59, 0x3f737871, v137
	v_fmac_f32_e32 v89, 0xbf167918, v110
	;; [unrolled: 1-line block ×3, first 2 shown]
	v_add_f32_e32 v108, v114, v115
	v_add_f32_e32 v112, v123, v124
	v_fmac_f32_e32 v91, 0xbf167918, v109
	v_fmac_f32_e32 v56, 0x3f167918, v109
	;; [unrolled: 1-line block ×6, first 2 shown]
	v_add_f32_e32 v114, v129, v130
	v_add_f32_e32 v117, v138, v139
	v_fmac_f32_e32 v93, 0xbf167918, v128
	v_fmac_f32_e32 v94, 0x3f167918, v137
	v_add_f32_e32 v115, v132, v133
	v_add_f32_e32 v120, v141, v142
	v_fmac_f32_e32 v62, 0x3f167918, v128
	v_fmac_f32_e32 v95, 0xbf167918, v127
	;; [unrolled: 1-line block ×6, first 2 shown]
	v_add_f32_e32 v103, v121, v103
	v_add_f32_e32 v104, v122, v104
	v_fmac_f32_e32 v89, 0x3e9e377a, v107
	v_fmac_f32_e32 v90, 0x3e9e377a, v111
	;; [unrolled: 1-line block ×8, first 2 shown]
	v_add_f32_e32 v105, v113, v105
	v_add_f32_e32 v106, v116, v106
	v_fmac_f32_e32 v93, 0x3e9e377a, v114
	v_fmac_f32_e32 v94, 0x3e9e377a, v117
	;; [unrolled: 1-line block ×8, first 2 shown]
	ds_write2_b64 v100, v[103:104], v[89:90] offset1:1
	ds_write2_b64 v100, v[91:92], v[56:57] offset0:2 offset1:3
	ds_write_b64 v100, v[60:61] offset:32
	ds_write2_b64 v99, v[105:106], v[93:94] offset1:1
	ds_write2_b64 v99, v[95:96], v[58:59] offset0:2 offset1:3
	ds_write_b64 v99, v[62:63] offset:32
	s_waitcnt lgkmcnt(0)
	s_barrier
	buffer_gl0_inv
	ds_read2_b64 v[56:59], v98 offset1:150
	ds_read2_b64 v[60:63], v48 offset0:44 offset1:194
	ds_read2_b64 v[89:92], v55 offset0:88 offset1:238
	;; [unrolled: 1-line block ×4, first 2 shown]
	s_waitcnt lgkmcnt(0)
	s_barrier
	buffer_gl0_inv
	v_mul_f32_e32 v99, v9, v59
	v_mul_f32_e32 v9, v9, v58
	;; [unrolled: 1-line block ×18, first 2 shown]
	v_fmac_f32_e32 v99, v8, v58
	v_fma_f32 v8, v8, v59, -v9
	v_fmac_f32_e32 v100, v10, v60
	v_fma_f32 v9, v10, v61, -v11
	;; [unrolled: 2-line block ×6, first 2 shown]
	v_fma_f32 v2, v12, v96, -v13
	v_fmac_f32_e32 v112, v14, v103
	v_fma_f32 v3, v14, v104, -v15
	v_fma_f32 v6, v85, v106, -v86
	v_fmac_f32_e32 v111, v12, v95
	v_fmac_f32_e32 v113, v85, v105
	v_add_f32_e32 v7, v56, v100
	v_add_f32_e32 v10, v108, v110
	v_sub_f32_e32 v13, v100, v108
	v_sub_f32_e32 v14, v112, v110
	v_add_f32_e32 v15, v100, v112
	v_sub_f32_e32 v85, v9, v5
	v_sub_f32_e32 v86, v3, v1
	v_add_f32_e32 v106, v0, v2
	v_add_f32_e32 v117, v4, v6
	v_sub_f32_e32 v58, v108, v100
	v_sub_f32_e32 v59, v110, v112
	v_add_f32_e32 v60, v57, v9
	v_sub_f32_e32 v62, v100, v112
	v_sub_f32_e32 v63, v108, v110
	;; [unrolled: 7-line block ×3, first 2 shown]
	v_add_f32_e32 v7, v7, v108
	v_fma_f32 v108, -0.5, v10, v56
	v_add_f32_e32 v10, v13, v14
	v_fma_f32 v13, -0.5, v15, v56
	;; [unrolled: 2-line block ×3, first 2 shown]
	v_add_f32_e32 v61, v5, v1
	v_add_f32_e32 v105, v8, v4
	v_sub_f32_e32 v114, v109, v111
	v_fmac_f32_e32 v8, -0.5, v117
	v_sub_f32_e32 v11, v9, v3
	v_sub_f32_e32 v12, v5, v1
	v_add_f32_e32 v89, v9, v3
	v_sub_f32_e32 v9, v5, v9
	v_sub_f32_e32 v93, v4, v6
	;; [unrolled: 1-line block ×5, first 2 shown]
	v_add_f32_e32 v14, v58, v59
	v_add_f32_e32 v5, v60, v5
	;; [unrolled: 1-line block ×3, first 2 shown]
	v_fma_f32 v58, -0.5, v92, v99
	v_add_f32_e32 v60, v95, v96
	v_fmac_f32_e32 v99, -0.5, v100
	v_fmamk_f32 v96, v107, 0x3f737871, v85
	v_sub_f32_e32 v90, v1, v3
	v_sub_f32_e32 v4, v0, v4
	;; [unrolled: 1-line block ×3, first 2 shown]
	v_fma_f32 v59, -0.5, v61, v57
	v_fmamk_f32 v100, v114, 0xbf737871, v8
	v_fmac_f32_e32 v8, 0x3f737871, v114
	v_fmac_f32_e32 v85, 0xbf737871, v107
	v_sub_f32_e32 v104, v111, v113
	v_add_f32_e32 v86, v115, v116
	v_add_f32_e32 v1, v5, v1
	v_add_f32_e32 v5, v56, v111
	v_fmamk_f32 v56, v93, 0xbf737871, v58
	v_fmamk_f32 v95, v94, 0x3f737871, v99
	v_fmac_f32_e32 v99, 0xbf737871, v94
	v_fmac_f32_e32 v96, 0x3f167918, v114
	v_fma_f32 v57, -0.5, v89, v57
	v_add_f32_e32 v9, v9, v90
	v_add_f32_e32 v4, v4, v118
	v_fmamk_f32 v90, v12, 0x3f737871, v13
	v_fmac_f32_e32 v13, 0xbf737871, v12
	v_fmamk_f32 v91, v62, 0x3f737871, v59
	v_fmac_f32_e32 v59, 0xbf737871, v62
	v_fmac_f32_e32 v100, 0x3f167918, v107
	;; [unrolled: 1-line block ×5, first 2 shown]
	v_add_f32_e32 v61, v103, v104
	v_add_f32_e32 v0, v105, v0
	v_fmamk_f32 v89, v11, 0xbf737871, v108
	v_fmac_f32_e32 v108, 0x3f737871, v11
	v_fmac_f32_e32 v56, 0xbf167918, v94
	;; [unrolled: 1-line block ×5, first 2 shown]
	v_fmamk_f32 v92, v63, 0xbf737871, v57
	v_fmac_f32_e32 v57, 0x3f737871, v63
	v_fmac_f32_e32 v90, 0xbf167918, v11
	;; [unrolled: 1-line block ×9, first 2 shown]
	v_add_f32_e32 v7, v7, v110
	v_add_f32_e32 v0, v0, v2
	v_fmac_f32_e32 v89, 0xbf167918, v12
	v_fmac_f32_e32 v108, 0x3f167918, v12
	;; [unrolled: 1-line block ×5, first 2 shown]
	v_mul_f32_e32 v12, 0xbf167918, v96
	v_mul_f32_e32 v61, 0x3f4f1bbd, v96
	v_fmac_f32_e32 v92, 0x3f167918, v62
	v_fmac_f32_e32 v57, 0xbf167918, v62
	;; [unrolled: 1-line block ×6, first 2 shown]
	v_mul_f32_e32 v14, 0xbf737871, v100
	v_mul_f32_e32 v15, 0xbf737871, v8
	;; [unrolled: 1-line block ×4, first 2 shown]
	v_fmac_f32_e32 v58, 0x3e9e377a, v60
	v_mul_f32_e32 v60, 0xbf167918, v85
	v_mul_f32_e32 v85, 0xbf4f1bbd, v85
	v_add_f32_e32 v2, v7, v112
	v_add_f32_e32 v3, v1, v3
	;; [unrolled: 1-line block ×4, first 2 shown]
	v_fmac_f32_e32 v89, 0x3e9e377a, v10
	v_fmac_f32_e32 v12, 0x3f4f1bbd, v56
	;; [unrolled: 1-line block ×12, first 2 shown]
	v_add_f32_e32 v0, v2, v5
	v_add_f32_e32 v1, v3, v6
	v_sub_f32_e32 v2, v2, v5
	v_add_f32_e32 v4, v89, v12
	v_add_f32_e32 v5, v91, v61
	v_sub_f32_e32 v3, v3, v6
	v_add_f32_e32 v6, v90, v14
	v_add_f32_e32 v8, v13, v15
	;; [unrolled: 1-line block ×6, first 2 shown]
	v_sub_f32_e32 v12, v89, v12
	v_sub_f32_e32 v14, v90, v14
	;; [unrolled: 1-line block ×8, first 2 shown]
	ds_write2_b64 v101, v[0:1], v[4:5] offset1:5
	ds_write2_b64 v101, v[6:7], v[8:9] offset0:10 offset1:15
	ds_write2_b64 v101, v[10:11], v[2:3] offset0:20 offset1:25
	;; [unrolled: 1-line block ×4, first 2 shown]
	s_waitcnt lgkmcnt(0)
	s_barrier
	buffer_gl0_inv
	ds_read2_b64 v[0:3], v98 offset1:150
	ds_read2_b64 v[4:7], v48 offset0:44 offset1:194
	ds_read2_b64 v[8:11], v55 offset0:88 offset1:238
	;; [unrolled: 1-line block ×4, first 2 shown]
	s_waitcnt lgkmcnt(0)
	s_barrier
	buffer_gl0_inv
	v_mul_f32_e32 v58, v17, v3
	v_mul_f32_e32 v59, v19, v5
	;; [unrolled: 1-line block ×14, first 2 shown]
	v_fmac_f32_e32 v58, v16, v2
	v_fmac_f32_e32 v59, v18, v4
	v_fma_f32 v2, v18, v5, -v19
	v_fmac_f32_e32 v61, v22, v8
	v_fma_f32 v5, v22, v9, -v23
	v_fmac_f32_e32 v63, v26, v12
	v_fmac_f32_e32 v86, v30, v54
	v_fma_f32 v9, v30, v55, -v31
	v_mul_f32_e32 v62, v25, v11
	v_mul_f32_e32 v25, v25, v10
	v_fma_f32 v3, v16, v3, -v17
	v_fmac_f32_e32 v60, v20, v6
	v_fma_f32 v4, v20, v7, -v21
	v_fma_f32 v7, v26, v13, -v27
	;; [unrolled: 1-line block ×3, first 2 shown]
	v_add_f32_e32 v12, v61, v63
	v_sub_f32_e32 v15, v59, v61
	v_sub_f32_e32 v16, v86, v63
	v_add_f32_e32 v17, v59, v86
	v_sub_f32_e32 v18, v61, v59
	v_sub_f32_e32 v19, v63, v86
	v_add_f32_e32 v26, v2, v9
	v_mul_f32_e32 v89, v88, v57
	v_mul_f32_e32 v88, v88, v56
	v_fmac_f32_e32 v62, v24, v10
	v_fma_f32 v6, v24, v11, -v25
	v_fmac_f32_e32 v85, v28, v14
	v_add_f32_e32 v11, v0, v59
	v_sub_f32_e32 v13, v2, v9
	v_sub_f32_e32 v14, v5, v7
	v_add_f32_e32 v20, v1, v2
	v_add_f32_e32 v21, v5, v7
	v_sub_f32_e32 v23, v61, v63
	v_sub_f32_e32 v24, v2, v5
	;; [unrolled: 1-line block ×5, first 2 shown]
	v_add_f32_e32 v28, v58, v60
	v_fma_f32 v55, -0.5, v12, v0
	v_add_f32_e32 v12, v15, v16
	v_fma_f32 v15, -0.5, v17, v0
	;; [unrolled: 2-line block ×3, first 2 shown]
	v_fma_f32 v10, v87, v57, -v88
	v_sub_f32_e32 v22, v59, v86
	v_add_f32_e32 v29, v62, v85
	v_fma_f32 v17, -0.5, v21, v1
	v_add_f32_e32 v16, v24, v25
	v_add_f32_e32 v1, v2, v27
	;; [unrolled: 1-line block ×3, first 2 shown]
	v_fmamk_f32 v21, v14, 0x3f737871, v15
	v_fmac_f32_e32 v15, 0xbf737871, v14
	v_fmamk_f32 v25, v23, 0xbf737871, v19
	v_fmac_f32_e32 v19, 0x3f737871, v23
	v_fmac_f32_e32 v89, v87, v56
	v_add_f32_e32 v5, v20, v5
	v_sub_f32_e32 v30, v4, v10
	v_fma_f32 v18, -0.5, v29, v58
	v_fmamk_f32 v20, v13, 0xbf737871, v55
	v_fmac_f32_e32 v55, 0x3f737871, v13
	v_add_f32_e32 v2, v2, v85
	v_fmac_f32_e32 v21, 0xbf167918, v13
	v_fmac_f32_e32 v15, 0x3f167918, v13
	;; [unrolled: 1-line block ×4, first 2 shown]
	v_add_f32_e32 v31, v60, v89
	v_add_f32_e32 v5, v5, v7
	v_sub_f32_e32 v54, v6, v8
	v_fmac_f32_e32 v20, 0xbf167918, v14
	v_fmac_f32_e32 v55, 0x3f167918, v14
	v_add_f32_e32 v14, v2, v89
	v_fmac_f32_e32 v21, 0x3e9e377a, v0
	v_fmac_f32_e32 v15, 0x3e9e377a, v0
	;; [unrolled: 1-line block ×4, first 2 shown]
	v_fmamk_f32 v1, v30, 0xbf737871, v18
	v_sub_f32_e32 v0, v60, v62
	v_sub_f32_e32 v2, v89, v85
	v_fmac_f32_e32 v18, 0x3f737871, v30
	v_fmac_f32_e32 v58, -0.5, v31
	v_add_f32_e32 v13, v5, v9
	v_sub_f32_e32 v7, v62, v60
	v_sub_f32_e32 v9, v85, v89
	v_fmamk_f32 v24, v22, 0x3f737871, v17
	v_fmac_f32_e32 v17, 0xbf737871, v22
	v_fmac_f32_e32 v1, 0xbf167918, v54
	v_add_f32_e32 v0, v0, v2
	v_fmac_f32_e32 v18, 0x3f167918, v54
	v_fmamk_f32 v5, v54, 0x3f737871, v58
	v_add_f32_e32 v2, v7, v9
	v_fmac_f32_e32 v58, 0xbf737871, v54
	v_add_f32_e32 v7, v6, v8
	v_fmac_f32_e32 v24, 0x3f167918, v23
	v_fmac_f32_e32 v17, 0xbf167918, v23
	;; [unrolled: 1-line block ×4, first 2 shown]
	v_add_f32_e32 v0, v4, v10
	v_fmac_f32_e32 v5, 0xbf167918, v30
	v_fmac_f32_e32 v58, 0x3f167918, v30
	v_fma_f32 v7, -0.5, v7, v3
	v_sub_f32_e32 v9, v60, v89
	v_fmac_f32_e32 v20, 0x3e9e377a, v12
	v_fmac_f32_e32 v55, 0x3e9e377a, v12
	v_fmac_f32_e32 v24, 0x3e9e377a, v16
	v_fmac_f32_e32 v17, 0x3e9e377a, v16
	v_add_f32_e32 v12, v3, v4
	v_sub_f32_e32 v16, v62, v85
	v_fmac_f32_e32 v3, -0.5, v0
	v_fmac_f32_e32 v5, 0x3e9e377a, v2
	v_fmac_f32_e32 v58, 0x3e9e377a, v2
	v_fmamk_f32 v22, v9, 0x3f737871, v7
	v_sub_f32_e32 v0, v4, v6
	v_sub_f32_e32 v2, v10, v8
	v_fmamk_f32 v23, v16, 0xbf737871, v3
	v_sub_f32_e32 v4, v6, v4
	v_sub_f32_e32 v26, v8, v10
	v_fmac_f32_e32 v3, 0x3f737871, v16
	v_fmac_f32_e32 v7, 0xbf737871, v9
	;; [unrolled: 1-line block ×3, first 2 shown]
	v_add_f32_e32 v0, v0, v2
	v_fmac_f32_e32 v23, 0x3f167918, v9
	v_add_f32_e32 v2, v4, v26
	v_fmac_f32_e32 v3, 0xbf167918, v9
	v_fmac_f32_e32 v7, 0xbf167918, v16
	v_add_f32_e32 v11, v11, v61
	v_add_f32_e32 v4, v12, v6
	v_fmac_f32_e32 v22, 0x3e9e377a, v0
	v_fmac_f32_e32 v23, 0x3e9e377a, v2
	;; [unrolled: 1-line block ×4, first 2 shown]
	v_add_f32_e32 v11, v11, v63
	v_add_f32_e32 v2, v4, v8
	v_mul_f32_e32 v12, 0xbf167918, v22
	v_mul_f32_e32 v22, 0x3f4f1bbd, v22
	;; [unrolled: 1-line block ×8, first 2 shown]
	v_add_f32_e32 v11, v11, v86
	v_add_f32_e32 v27, v2, v10
	v_fmac_f32_e32 v12, 0x3f4f1bbd, v1
	v_fmac_f32_e32 v22, 0x3f167918, v1
	;; [unrolled: 1-line block ×8, first 2 shown]
	v_add_f32_e32 v0, v11, v14
	v_add_f32_e32 v2, v20, v12
	;; [unrolled: 1-line block ×10, first 2 shown]
	v_sub_f32_e32 v10, v11, v14
	v_sub_f32_e32 v11, v13, v27
	;; [unrolled: 1-line block ×7, first 2 shown]
	v_add_nc_u32_e32 v20, 0x800, v102
	v_sub_f32_e32 v16, v55, v28
	v_sub_f32_e32 v19, v19, v29
	v_sub_f32_e32 v17, v17, v30
	ds_write2_b64 v102, v[0:1], v[2:3] offset1:50
	ds_write2_b64 v102, v[4:5], v[6:7] offset0:100 offset1:150
	ds_write2_b64 v102, v[8:9], v[10:11] offset0:200 offset1:250
	;; [unrolled: 1-line block ×4, first 2 shown]
	v_add_nc_u32_e32 v20, 0x1400, v98
	s_waitcnt lgkmcnt(0)
	s_barrier
	buffer_gl0_inv
	ds_read2_b64 v[0:3], v98 offset1:150
	ds_read2_b64 v[4:7], v48 offset0:44 offset1:244
	ds_read2_b64 v[12:15], v49 offset0:104 offset1:254
	;; [unrolled: 1-line block ×3, first 2 shown]
	ds_read_b64 v[18:19], v98 offset:10400
	s_and_saveexec_b32 s0, vcc_lo
	s_cbranch_execz .LBB0_7
; %bb.6:
	ds_read_b64 v[16:17], v98 offset:3600
	ds_read_b64 v[52:53], v98 offset:7600
	;; [unrolled: 1-line block ×3, first 2 shown]
.LBB0_7:
	s_or_b32 exec_lo, exec_lo, s0
	s_waitcnt lgkmcnt(3)
	v_mul_f32_e32 v21, v45, v7
	v_mul_f32_e32 v22, v45, v6
	s_waitcnt lgkmcnt(2)
	v_mul_f32_e32 v23, v47, v13
	v_mul_f32_e32 v24, v47, v12
	s_waitcnt lgkmcnt(1)
	v_mul_f32_e32 v25, v41, v11
	v_fmac_f32_e32 v21, v44, v6
	v_fma_f32 v7, v44, v7, -v22
	v_mul_f32_e32 v22, v37, v9
	v_mul_f32_e32 v6, v37, v8
	v_fmac_f32_e32 v23, v46, v12
	v_fma_f32 v12, v46, v13, -v24
	v_mul_f32_e32 v13, v39, v15
	v_fmac_f32_e32 v22, v36, v8
	v_mul_f32_e32 v8, v39, v14
	v_fma_f32 v24, v36, v9, -v6
	v_mul_f32_e32 v6, v41, v10
	v_fmac_f32_e32 v13, v38, v14
	v_fmac_f32_e32 v25, v40, v10
	v_fma_f32 v14, v38, v15, -v8
	s_waitcnt lgkmcnt(0)
	v_mul_f32_e32 v8, v43, v18
	v_fma_f32 v26, v40, v11, -v6
	v_add_f32_e32 v6, v21, v23
	v_mul_f32_e32 v15, v43, v19
	v_add_f32_e32 v9, v0, v21
	v_fma_f32 v19, v42, v19, -v8
	v_add_f32_e32 v8, v7, v12
	v_fma_f32 v0, -0.5, v6, v0
	v_sub_f32_e32 v10, v7, v12
	v_add_f32_e32 v7, v1, v7
	v_sub_f32_e32 v11, v21, v23
	v_fma_f32 v1, -0.5, v8, v1
	v_fmac_f32_e32 v15, v42, v18
	v_fmamk_f32 v8, v10, 0xbf5db3d7, v0
	v_fmac_f32_e32 v0, 0x3f5db3d7, v10
	v_add_f32_e32 v10, v22, v13
	v_add_f32_e32 v6, v9, v23
	;; [unrolled: 1-line block ×3, first 2 shown]
	v_fmamk_f32 v9, v11, 0x3f5db3d7, v1
	v_add_f32_e32 v12, v2, v22
	v_fmac_f32_e32 v1, 0xbf5db3d7, v11
	v_add_f32_e32 v11, v24, v14
	v_fma_f32 v2, -0.5, v10, v2
	v_sub_f32_e32 v18, v24, v14
	v_add_f32_e32 v21, v3, v24
	v_add_f32_e32 v10, v12, v13
	v_fmac_f32_e32 v3, -0.5, v11
	v_sub_f32_e32 v22, v22, v13
	v_fmamk_f32 v12, v18, 0xbf5db3d7, v2
	v_fmac_f32_e32 v2, 0x3f5db3d7, v18
	v_add_f32_e32 v11, v21, v14
	v_add_f32_e32 v14, v25, v15
	;; [unrolled: 1-line block ×5, first 2 shown]
	v_fmamk_f32 v13, v22, 0x3f5db3d7, v3
	v_fmac_f32_e32 v3, 0xbf5db3d7, v22
	v_fma_f32 v4, -0.5, v14, v4
	v_sub_f32_e32 v22, v26, v19
	v_fmac_f32_e32 v5, -0.5, v18
	v_sub_f32_e32 v24, v25, v15
	v_add_f32_e32 v14, v21, v15
	v_add_f32_e32 v15, v23, v19
	v_fmamk_f32 v18, v22, 0xbf5db3d7, v4
	v_fmac_f32_e32 v4, 0x3f5db3d7, v22
	v_fmamk_f32 v19, v24, 0x3f5db3d7, v5
	v_fmac_f32_e32 v5, 0xbf5db3d7, v24
	ds_write_b64 v98, v[8:9] offset:4000
	v_add_nc_u32_e32 v8, 0x2200, v98
	ds_write_b64 v98, v[0:1] offset:8000
	ds_write2_b64 v98, v[6:7], v[10:11] offset1:150
	ds_write_b64 v98, v[14:15] offset:2400
	ds_write2_b64 v20, v[12:13], v[18:19] offset0:10 offset1:160
	ds_write2_b64 v8, v[2:3], v[4:5] offset0:62 offset1:212
	s_and_saveexec_b32 s0, vcc_lo
	s_cbranch_execz .LBB0_9
; %bb.8:
	v_mul_f32_e32 v0, v33, v52
	v_mul_f32_e32 v1, v35, v50
	;; [unrolled: 1-line block ×4, first 2 shown]
	v_fma_f32 v0, v32, v53, -v0
	v_fma_f32 v3, v34, v51, -v1
	v_fmac_f32_e32 v2, v32, v52
	v_fmac_f32_e32 v4, v34, v50
	v_add_f32_e32 v7, v17, v0
	v_add_f32_e32 v1, v0, v3
	v_sub_f32_e32 v8, v0, v3
	v_add_f32_e32 v5, v2, v4
	v_sub_f32_e32 v6, v2, v4
	v_add_f32_e32 v2, v16, v2
	v_fma_f32 v1, -0.5, v1, v17
	v_add_f32_e32 v3, v7, v3
	v_fma_f32 v0, -0.5, v5, v16
	v_add_f32_e32 v2, v2, v4
	v_fmamk_f32 v5, v6, 0xbf5db3d7, v1
	v_fmac_f32_e32 v1, 0x3f5db3d7, v6
	v_fmamk_f32 v4, v8, 0x3f5db3d7, v0
	v_fmac_f32_e32 v0, 0xbf5db3d7, v8
	ds_write_b64 v98, v[2:3] offset:3600
	ds_write_b64 v98, v[0:1] offset:7600
	;; [unrolled: 1-line block ×3, first 2 shown]
.LBB0_9:
	s_or_b32 exec_lo, exec_lo, s0
	v_add_nc_u32_e32 v4, 0x800, v98
	s_waitcnt lgkmcnt(0)
	s_barrier
	buffer_gl0_inv
	ds_read2_b64 v[0:3], v98 offset1:150
	ds_read2_b64 v[4:7], v4 offset0:44 offset1:194
	v_mad_u64_u32 v[20:21], null, s10, v64, 0
	v_mad_u64_u32 v[22:23], null, s8, v97, 0
	v_add_nc_u32_e32 v8, 0x1000, v98
	v_add_nc_u32_e32 v12, 0x1c00, v98
	s_mov_b32 s0, 0xc3ece2a5
	v_add_nc_u32_e32 v16, 0x2400, v98
	s_mov_b32 s1, 0x3f45d867
	ds_read2_b64 v[8:11], v8 offset0:88 offset1:238
	ds_read2_b64 v[12:15], v12 offset0:4 offset1:154
	ds_read2_b64 v[16:19], v16 offset0:48 offset1:198
	s_mul_i32 s2, s9, 0x960
	s_mul_hi_u32 s6, s8, 0x960
	s_mul_i32 s3, s8, 0x960
	s_add_i32 s2, s6, s2
	s_waitcnt lgkmcnt(4)
	v_mul_f32_e32 v24, v66, v1
	v_mul_f32_e32 v25, v66, v0
	s_waitcnt lgkmcnt(3)
	v_mul_f32_e32 v26, v84, v5
	v_mul_f32_e32 v27, v84, v4
	v_fmac_f32_e32 v24, v65, v0
	v_fma_f32 v25, v65, v1, -v25
	v_fmac_f32_e32 v26, v83, v4
	v_fma_f32 v28, v83, v5, -v27
	v_mad_u64_u32 v[0:1], null, s11, v64, v[21:22]
	v_cvt_f64_f32_e32 v[4:5], v24
	v_cvt_f64_f32_e32 v[24:25], v25
	;; [unrolled: 1-line block ×4, first 2 shown]
	v_mul_f32_e32 v1, v72, v2
	s_waitcnt lgkmcnt(1)
	v_mul_f32_e32 v34, v78, v12
	v_mov_b32_e32 v21, v0
	v_mul_f32_e32 v32, v76, v8
	v_mul_f32_e32 v33, v78, v13
	v_fma_f32 v37, v71, v3, -v1
	s_waitcnt lgkmcnt(0)
	v_mul_f32_e32 v35, v82, v17
	v_lshlrev_b64 v[20:21], 3, v[20:21]
	v_mul_f32_e32 v36, v82, v16
	v_fmac_f32_e32 v33, v77, v12
	v_mul_f32_e32 v38, v68, v11
	v_fmac_f32_e32 v35, v81, v16
	v_fmac_f32_e32 v38, v67, v10
	v_mul_f64 v[0:1], v[4:5], s[0:1]
	v_mad_u64_u32 v[30:31], null, s9, v97, v[23:24]
	v_mul_f32_e32 v31, v72, v3
	v_mul_f64 v[4:5], v[26:27], s[0:1]
	v_mul_f32_e32 v26, v80, v6
	v_fma_f32 v27, v75, v9, -v32
	v_fma_f32 v32, v81, v17, -v36
	v_fmac_f32_e32 v31, v71, v2
	v_mul_f64 v[2:3], v[24:25], s[0:1]
	v_mul_f64 v[24:25], v[28:29], s[0:1]
	v_mov_b32_e32 v23, v30
	v_mul_f32_e32 v30, v76, v9
	v_mul_f32_e32 v28, v80, v7
	v_fma_f32 v29, v77, v13, -v34
	v_fma_f32 v34, v79, v7, -v26
	v_lshlrev_b64 v[22:23], 3, v[22:23]
	v_fmac_f32_e32 v30, v75, v8
	v_fmac_f32_e32 v28, v79, v6
	v_cvt_f64_f32_e32 v[8:9], v31
	v_cvt_f64_f32_e32 v[16:17], v27
	;; [unrolled: 1-line block ×3, first 2 shown]
	v_cvt_f32_f64_e32 v0, v[0:1]
	v_cvt_f64_f32_e32 v[6:7], v30
	v_add_co_u32 v30, vcc_lo, s4, v20
	v_add_co_ci_u32_e32 v31, vcc_lo, s5, v21, vcc_lo
	v_cvt_f64_f32_e32 v[20:21], v29
	v_add_co_u32 v22, vcc_lo, v30, v22
	v_cvt_f32_f64_e32 v1, v[2:3]
	v_cvt_f32_f64_e32 v2, v[4:5]
	;; [unrolled: 1-line block ×3, first 2 shown]
	v_add_co_ci_u32_e32 v23, vcc_lo, v31, v23, vcc_lo
	v_add_co_u32 v30, vcc_lo, v22, s3
	v_cvt_f64_f32_e32 v[4:5], v33
	v_add_co_ci_u32_e32 v31, vcc_lo, s2, v23, vcc_lo
	v_cvt_f64_f32_e32 v[24:25], v35
	v_cvt_f64_f32_e32 v[26:27], v32
	;; [unrolled: 1-line block ×4, first 2 shown]
	v_mul_f64 v[6:7], v[6:7], s[0:1]
	v_mul_f64 v[16:17], v[16:17], s[0:1]
	;; [unrolled: 1-line block ×4, first 2 shown]
	global_store_dwordx2 v[22:23], v[0:1], off
	global_store_dwordx2 v[30:31], v[2:3], off
	v_mul_f32_e32 v2, v68, v10
	v_mul_f32_e32 v10, v70, v15
	v_mul_f32_e32 v3, v70, v14
	v_mul_f32_e32 v22, v74, v19
	v_mul_f32_e32 v23, v74, v18
	v_fma_f32 v2, v67, v11, -v2
	v_fmac_f32_e32 v10, v69, v14
	v_fma_f32 v14, v69, v15, -v3
	v_fmac_f32_e32 v22, v73, v18
	v_fma_f32 v23, v73, v19, -v23
	v_cvt_f64_f32_e32 v[0:1], v38
	v_cvt_f64_f32_e32 v[2:3], v2
	v_cvt_f64_f32_e32 v[10:11], v10
	v_cvt_f64_f32_e32 v[14:15], v14
	v_cvt_f64_f32_e32 v[18:19], v22
	v_cvt_f64_f32_e32 v[22:23], v23
	v_mul_f64 v[4:5], v[4:5], s[0:1]
	v_mul_f64 v[20:21], v[20:21], s[0:1]
	v_add_co_u32 v30, vcc_lo, v30, s3
	v_add_co_ci_u32_e32 v31, vcc_lo, s2, v31, vcc_lo
	v_mul_f64 v[24:25], v[24:25], s[0:1]
	v_mul_f64 v[26:27], v[26:27], s[0:1]
	;; [unrolled: 1-line block ×4, first 2 shown]
	v_add_co_u32 v34, vcc_lo, v30, s3
	v_add_co_ci_u32_e32 v35, vcc_lo, s2, v31, vcc_lo
	v_cvt_f32_f64_e32 v6, v[6:7]
	v_add_co_u32 v36, vcc_lo, v34, s3
	v_mul_f64 v[0:1], v[0:1], s[0:1]
	v_mul_f64 v[2:3], v[2:3], s[0:1]
	;; [unrolled: 1-line block ×6, first 2 shown]
	v_cvt_f32_f64_e32 v7, v[16:17]
	v_add_co_ci_u32_e32 v37, vcc_lo, s2, v35, vcc_lo
	v_cvt_f32_f64_e32 v4, v[4:5]
	v_cvt_f32_f64_e32 v5, v[20:21]
	s_mul_i32 s0, s9, 0xffffdf30
	v_mad_u64_u32 v[16:17], null, 0xffffdf30, s8, v[36:37]
	s_sub_i32 s0, s0, s8
	v_cvt_f32_f64_e32 v20, v[24:25]
	v_cvt_f32_f64_e32 v21, v[26:27]
	;; [unrolled: 1-line block ×5, first 2 shown]
	v_add_nc_u32_e32 v17, s0, v17
	v_cvt_f32_f64_e32 v13, v[32:33]
	v_cvt_f32_f64_e32 v0, v[0:1]
	v_cvt_f32_f64_e32 v1, v[2:3]
	v_cvt_f32_f64_e32 v2, v[10:11]
	v_cvt_f32_f64_e32 v3, v[14:15]
	v_cvt_f32_f64_e32 v10, v[18:19]
	v_cvt_f32_f64_e32 v11, v[22:23]
	v_add_co_u32 v14, vcc_lo, v16, s3
	v_add_co_ci_u32_e32 v15, vcc_lo, s2, v17, vcc_lo
	global_store_dwordx2 v[30:31], v[6:7], off
	v_add_co_u32 v6, vcc_lo, v14, s3
	v_add_co_ci_u32_e32 v7, vcc_lo, s2, v15, vcc_lo
	global_store_dwordx2 v[34:35], v[4:5], off
	;; [unrolled: 3-line block ×4, first 2 shown]
	global_store_dwordx2 v[14:15], v[12:13], off
	global_store_dwordx2 v[6:7], v[0:1], off
	;; [unrolled: 1-line block ×4, first 2 shown]
.LBB0_10:
	s_endpgm
	.section	.rodata,"a",@progbits
	.p2align	6, 0x0
	.amdhsa_kernel bluestein_single_fwd_len1500_dim1_sp_op_CI_CI
		.amdhsa_group_segment_fixed_size 12000
		.amdhsa_private_segment_fixed_size 0
		.amdhsa_kernarg_size 104
		.amdhsa_user_sgpr_count 6
		.amdhsa_user_sgpr_private_segment_buffer 1
		.amdhsa_user_sgpr_dispatch_ptr 0
		.amdhsa_user_sgpr_queue_ptr 0
		.amdhsa_user_sgpr_kernarg_segment_ptr 1
		.amdhsa_user_sgpr_dispatch_id 0
		.amdhsa_user_sgpr_flat_scratch_init 0
		.amdhsa_user_sgpr_private_segment_size 0
		.amdhsa_wavefront_size32 1
		.amdhsa_uses_dynamic_stack 0
		.amdhsa_system_sgpr_private_segment_wavefront_offset 0
		.amdhsa_system_sgpr_workgroup_id_x 1
		.amdhsa_system_sgpr_workgroup_id_y 0
		.amdhsa_system_sgpr_workgroup_id_z 0
		.amdhsa_system_sgpr_workgroup_info 0
		.amdhsa_system_vgpr_workitem_id 0
		.amdhsa_next_free_vgpr 143
		.amdhsa_next_free_sgpr 20
		.amdhsa_reserve_vcc 1
		.amdhsa_reserve_flat_scratch 0
		.amdhsa_float_round_mode_32 0
		.amdhsa_float_round_mode_16_64 0
		.amdhsa_float_denorm_mode_32 3
		.amdhsa_float_denorm_mode_16_64 3
		.amdhsa_dx10_clamp 1
		.amdhsa_ieee_mode 1
		.amdhsa_fp16_overflow 0
		.amdhsa_workgroup_processor_mode 1
		.amdhsa_memory_ordered 1
		.amdhsa_forward_progress 0
		.amdhsa_shared_vgpr_count 0
		.amdhsa_exception_fp_ieee_invalid_op 0
		.amdhsa_exception_fp_denorm_src 0
		.amdhsa_exception_fp_ieee_div_zero 0
		.amdhsa_exception_fp_ieee_overflow 0
		.amdhsa_exception_fp_ieee_underflow 0
		.amdhsa_exception_fp_ieee_inexact 0
		.amdhsa_exception_int_div_zero 0
	.end_amdhsa_kernel
	.text
.Lfunc_end0:
	.size	bluestein_single_fwd_len1500_dim1_sp_op_CI_CI, .Lfunc_end0-bluestein_single_fwd_len1500_dim1_sp_op_CI_CI
                                        ; -- End function
	.section	.AMDGPU.csdata,"",@progbits
; Kernel info:
; codeLenInByte = 10768
; NumSgprs: 22
; NumVgprs: 143
; ScratchSize: 0
; MemoryBound: 0
; FloatMode: 240
; IeeeMode: 1
; LDSByteSize: 12000 bytes/workgroup (compile time only)
; SGPRBlocks: 2
; VGPRBlocks: 17
; NumSGPRsForWavesPerEU: 22
; NumVGPRsForWavesPerEU: 143
; Occupancy: 7
; WaveLimiterHint : 1
; COMPUTE_PGM_RSRC2:SCRATCH_EN: 0
; COMPUTE_PGM_RSRC2:USER_SGPR: 6
; COMPUTE_PGM_RSRC2:TRAP_HANDLER: 0
; COMPUTE_PGM_RSRC2:TGID_X_EN: 1
; COMPUTE_PGM_RSRC2:TGID_Y_EN: 0
; COMPUTE_PGM_RSRC2:TGID_Z_EN: 0
; COMPUTE_PGM_RSRC2:TIDIG_COMP_CNT: 0
	.text
	.p2alignl 6, 3214868480
	.fill 48, 4, 3214868480
	.type	__hip_cuid_e581b4a0724de1a7,@object ; @__hip_cuid_e581b4a0724de1a7
	.section	.bss,"aw",@nobits
	.globl	__hip_cuid_e581b4a0724de1a7
__hip_cuid_e581b4a0724de1a7:
	.byte	0                               ; 0x0
	.size	__hip_cuid_e581b4a0724de1a7, 1

	.ident	"AMD clang version 19.0.0git (https://github.com/RadeonOpenCompute/llvm-project roc-6.4.0 25133 c7fe45cf4b819c5991fe208aaa96edf142730f1d)"
	.section	".note.GNU-stack","",@progbits
	.addrsig
	.addrsig_sym __hip_cuid_e581b4a0724de1a7
	.amdgpu_metadata
---
amdhsa.kernels:
  - .args:
      - .actual_access:  read_only
        .address_space:  global
        .offset:         0
        .size:           8
        .value_kind:     global_buffer
      - .actual_access:  read_only
        .address_space:  global
        .offset:         8
        .size:           8
        .value_kind:     global_buffer
      - .actual_access:  read_only
        .address_space:  global
        .offset:         16
        .size:           8
        .value_kind:     global_buffer
      - .actual_access:  read_only
        .address_space:  global
        .offset:         24
        .size:           8
        .value_kind:     global_buffer
      - .actual_access:  read_only
        .address_space:  global
        .offset:         32
        .size:           8
        .value_kind:     global_buffer
      - .offset:         40
        .size:           8
        .value_kind:     by_value
      - .address_space:  global
        .offset:         48
        .size:           8
        .value_kind:     global_buffer
      - .address_space:  global
        .offset:         56
        .size:           8
        .value_kind:     global_buffer
      - .address_space:  global
        .offset:         64
        .size:           8
        .value_kind:     global_buffer
      - .address_space:  global
        .offset:         72
        .size:           8
        .value_kind:     global_buffer
      - .offset:         80
        .size:           4
        .value_kind:     by_value
      - .address_space:  global
        .offset:         88
        .size:           8
        .value_kind:     global_buffer
      - .address_space:  global
        .offset:         96
        .size:           8
        .value_kind:     global_buffer
    .group_segment_fixed_size: 12000
    .kernarg_segment_align: 8
    .kernarg_segment_size: 104
    .language:       OpenCL C
    .language_version:
      - 2
      - 0
    .max_flat_workgroup_size: 150
    .name:           bluestein_single_fwd_len1500_dim1_sp_op_CI_CI
    .private_segment_fixed_size: 0
    .sgpr_count:     22
    .sgpr_spill_count: 0
    .symbol:         bluestein_single_fwd_len1500_dim1_sp_op_CI_CI.kd
    .uniform_work_group_size: 1
    .uses_dynamic_stack: false
    .vgpr_count:     143
    .vgpr_spill_count: 0
    .wavefront_size: 32
    .workgroup_processor_mode: 1
amdhsa.target:   amdgcn-amd-amdhsa--gfx1030
amdhsa.version:
  - 1
  - 2
...

	.end_amdgpu_metadata
